;; amdgpu-corpus repo=ROCm/rocFFT kind=compiled arch=gfx1030 opt=O3
	.text
	.amdgcn_target "amdgcn-amd-amdhsa--gfx1030"
	.amdhsa_code_object_version 6
	.protected	fft_rtc_back_len169_factors_13_13_wgs_156_tpt_13_sp_op_CI_CI_sbrc_unaligned ; -- Begin function fft_rtc_back_len169_factors_13_13_wgs_156_tpt_13_sp_op_CI_CI_sbrc_unaligned
	.globl	fft_rtc_back_len169_factors_13_13_wgs_156_tpt_13_sp_op_CI_CI_sbrc_unaligned
	.p2align	8
	.type	fft_rtc_back_len169_factors_13_13_wgs_156_tpt_13_sp_op_CI_CI_sbrc_unaligned,@function
fft_rtc_back_len169_factors_13_13_wgs_156_tpt_13_sp_op_CI_CI_sbrc_unaligned: ; @fft_rtc_back_len169_factors_13_13_wgs_156_tpt_13_sp_op_CI_CI_sbrc_unaligned
; %bb.0:
	s_clause 0x1
	s_load_dwordx8 s[8:15], s[4:5], 0x0
	s_load_dwordx2 s[24:25], s[4:5], 0x20
	s_mov_b32 s28, 0
	s_mov_b32 s26, 3
	s_mov_b64 s[30:31], 2
	s_mov_b32 s38, s28
	s_waitcnt lgkmcnt(0)
	s_load_dword s33, s[12:13], 0x8
	s_load_dwordx4 s[20:23], s[14:15], 0x0
	s_waitcnt lgkmcnt(0)
	s_add_i32 s0, s33, -1
	s_mul_hi_u32 s0, s0, 0xaaaaaaab
	s_lshr_b32 s0, s0, 3
	s_add_i32 s7, s0, 1
	v_cvt_f32_u32_e32 v1, s7
	s_sub_i32 s1, 0, s7
	v_rcp_iflag_f32_e32 v1, v1
	v_mul_f32_e32 v1, 0x4f7ffffe, v1
	v_cvt_u32_f32_e32 v1, v1
	v_readfirstlane_b32 s0, v1
	s_mul_i32 s1, s1, s0
	s_mul_hi_u32 s1, s0, s1
	s_add_i32 s16, s0, s1
	s_load_dwordx4 s[0:3], s[4:5], 0x58
	s_mul_hi_u32 s4, s6, s16
	s_load_dwordx4 s[16:19], s[24:25], 0x0
	s_mul_i32 s5, s4, s7
	s_waitcnt lgkmcnt(0)
	s_add_i32 s19, s4, 1
	s_sub_i32 s5, s6, s5
	s_sub_i32 s23, s5, s7
	s_cmp_ge_u32 s5, s7
	s_cselect_b32 s4, s19, s4
	s_cselect_b32 s5, s23, s5
	s_add_i32 s19, s4, 1
	s_cmp_ge_u32 s5, s7
	s_cselect_b32 s23, s19, s4
	v_cmp_gt_u64_e64 s4, s[10:11], 2
	s_mul_i32 s5, s23, s7
	s_sub_i32 s19, s6, s5
	s_mul_i32 s19, s19, 12
	s_and_b32 vcc_lo, exec_lo, s4
	s_mul_i32 s5, s17, s19
	s_mul_hi_u32 s27, s16, s19
	s_mul_i32 s39, s19, s22
	s_mul_i32 s4, s16, s19
	s_add_i32 s5, s27, s5
	s_cbranch_vccz .LBB0_8
.LBB0_1:                                ; =>This Inner Loop Header: Depth=1
	s_lshl_b64 s[34:35], s[30:31], 3
	s_add_u32 s30, s12, s34
	s_addc_u32 s31, s13, s35
	s_load_dwordx2 s[30:31], s[30:31], 0x0
	s_waitcnt lgkmcnt(0)
	s_mov_b32 s29, s31
	s_cmp_lg_u64 s[28:29], 0
	s_cbranch_scc0 .LBB0_6
; %bb.2:                                ;   in Loop: Header=BB0_1 Depth=1
	v_cvt_f32_u32_e32 v1, s30
	v_cvt_f32_u32_e32 v2, s31
	s_sub_u32 s36, 0, s30
	s_subb_u32 s37, 0, s31
	v_fmac_f32_e32 v1, 0x4f800000, v2
	v_rcp_f32_e32 v1, v1
	v_mul_f32_e32 v1, 0x5f7ffffc, v1
	v_mul_f32_e32 v2, 0x2f800000, v1
	v_trunc_f32_e32 v2, v2
	v_fmac_f32_e32 v1, 0xcf800000, v2
	v_cvt_u32_f32_e32 v2, v2
	v_cvt_u32_f32_e32 v1, v1
	v_readfirstlane_b32 s27, v2
	v_readfirstlane_b32 s29, v1
	s_mul_i32 s40, s36, s27
	s_mul_hi_u32 s42, s36, s29
	s_mul_i32 s41, s37, s29
	s_add_i32 s40, s42, s40
	s_mul_i32 s43, s36, s29
	s_add_i32 s40, s40, s41
	s_mul_hi_u32 s42, s29, s43
	s_mul_hi_u32 s44, s27, s43
	s_mul_i32 s41, s27, s43
	s_mul_hi_u32 s43, s29, s40
	s_mul_i32 s29, s29, s40
	s_mul_hi_u32 s45, s27, s40
	s_add_u32 s29, s42, s29
	s_addc_u32 s42, 0, s43
	s_add_u32 s29, s29, s41
	s_mul_i32 s40, s27, s40
	s_addc_u32 s29, s42, s44
	s_addc_u32 s41, s45, 0
	s_add_u32 s29, s29, s40
	s_addc_u32 s40, 0, s41
	v_add_co_u32 v1, s29, v1, s29
	s_cmp_lg_u32 s29, 0
	s_addc_u32 s27, s27, s40
	v_readfirstlane_b32 s29, v1
	s_mul_i32 s40, s36, s27
	s_mul_hi_u32 s41, s36, s29
	s_mul_i32 s37, s37, s29
	s_add_i32 s40, s41, s40
	s_mul_i32 s36, s36, s29
	s_add_i32 s40, s40, s37
	s_mul_hi_u32 s41, s27, s36
	s_mul_i32 s42, s27, s36
	s_mul_hi_u32 s36, s29, s36
	s_mul_hi_u32 s43, s29, s40
	s_mul_i32 s29, s29, s40
	s_mul_hi_u32 s37, s27, s40
	s_add_u32 s29, s36, s29
	s_addc_u32 s36, 0, s43
	s_add_u32 s29, s29, s42
	s_mul_i32 s40, s27, s40
	s_addc_u32 s29, s36, s41
	s_addc_u32 s36, s37, 0
	s_add_u32 s29, s29, s40
	s_addc_u32 s36, 0, s36
	v_add_co_u32 v1, s29, v1, s29
	s_cmp_lg_u32 s29, 0
	s_addc_u32 s27, s27, s36
	v_readfirstlane_b32 s29, v1
	s_mul_i32 s36, s23, s27
	s_mul_hi_u32 s27, s23, s27
	s_mul_hi_u32 s29, s23, s29
	s_add_u32 s29, s29, s36
	s_addc_u32 s29, 0, s27
	s_mul_i32 s27, s31, s29
	s_mul_hi_u32 s36, s30, s29
	s_mul_i32 s37, s30, s29
	s_add_i32 s36, s36, s27
	v_sub_co_u32 v1, s27, s23, s37
	s_sub_i32 s37, 0, s36
	s_cmp_lg_u32 s27, 0
	v_sub_co_u32 v2, s40, v1, s30
	s_subb_u32 s37, s37, s31
	s_cmp_lg_u32 s40, 0
	v_readfirstlane_b32 s40, v2
	s_subb_u32 s37, s37, 0
	s_cmp_ge_u32 s37, s31
	s_cselect_b32 s41, -1, 0
	s_cmp_ge_u32 s40, s30
	s_cselect_b32 s40, -1, 0
	s_cmp_eq_u32 s37, s31
	s_cselect_b32 s37, s40, s41
	s_add_u32 s40, s29, 1
	s_addc_u32 s41, 0, 0
	s_add_u32 s42, s29, 2
	s_addc_u32 s43, 0, 0
	s_cmp_lg_u32 s37, 0
	s_cselect_b32 s40, s42, s40
	s_cselect_b32 s37, s43, s41
	s_cmp_lg_u32 s27, 0
	v_readfirstlane_b32 s27, v1
	s_subb_u32 s36, 0, s36
	s_cmp_ge_u32 s36, s31
	s_cselect_b32 s41, -1, 0
	s_cmp_ge_u32 s27, s30
	s_cselect_b32 s27, -1, 0
	s_cmp_eq_u32 s36, s31
	s_cselect_b32 s27, s27, s41
	s_cmp_lg_u32 s27, 0
	s_cselect_b32 s37, s37, 0
	s_cselect_b32 s36, s40, s29
	s_cbranch_execnz .LBB0_4
.LBB0_3:                                ;   in Loop: Header=BB0_1 Depth=1
	v_cvt_f32_u32_e32 v1, s30
	s_sub_i32 s29, 0, s30
	v_rcp_iflag_f32_e32 v1, v1
	v_mul_f32_e32 v1, 0x4f7ffffe, v1
	v_cvt_u32_f32_e32 v1, v1
	v_readfirstlane_b32 s27, v1
	s_mul_i32 s29, s29, s27
	s_mul_hi_u32 s29, s27, s29
	s_add_i32 s27, s27, s29
	s_mul_hi_u32 s27, s23, s27
	s_mul_i32 s29, s27, s30
	s_add_i32 s36, s27, 1
	s_sub_i32 s29, s23, s29
	s_sub_i32 s37, s29, s30
	s_cmp_ge_u32 s29, s30
	s_cselect_b32 s27, s36, s27
	s_cselect_b32 s29, s37, s29
	s_add_i32 s36, s27, 1
	s_cmp_ge_u32 s29, s30
	s_mov_b32 s37, s28
	s_cselect_b32 s36, s36, s27
.LBB0_4:                                ;   in Loop: Header=BB0_1 Depth=1
	s_mul_i32 s27, s36, s31
	s_mul_hi_u32 s29, s36, s30
	s_mul_i32 s31, s36, s30
	s_add_i32 s27, s29, s27
	s_mul_i32 s29, s37, s30
	s_mul_i32 s7, s7, s30
	s_add_i32 s27, s27, s29
	s_sub_u32 s23, s23, s31
	s_subb_u32 s29, 0, s27
	s_add_u32 s40, s14, s34
	s_addc_u32 s41, s15, s35
	s_load_dwordx2 s[40:41], s[40:41], 0x0
	s_waitcnt lgkmcnt(0)
	s_mul_i32 s27, s40, s29
	s_mul_hi_u32 s31, s40, s23
	s_mul_i32 s37, s41, s23
	s_add_i32 s27, s31, s27
	s_mul_i32 s31, s40, s23
	s_add_i32 s27, s27, s37
	s_add_u32 s39, s31, s39
	s_addc_u32 s38, s27, s38
	s_add_u32 s34, s24, s34
	s_addc_u32 s35, s25, s35
	s_mov_b32 s27, s28
	s_load_dwordx2 s[34:35], s[34:35], 0x0
	s_mov_b64 s[30:31], s[26:27]
	v_cmp_ge_u64_e64 s27, s[26:27], s[10:11]
	s_waitcnt lgkmcnt(0)
	s_mul_i32 s29, s34, s29
	s_mul_hi_u32 s37, s34, s23
	s_mul_i32 s35, s35, s23
	s_add_i32 s29, s37, s29
	s_mul_i32 s23, s34, s23
	s_add_i32 s29, s29, s35
	s_add_u32 s4, s23, s4
	s_addc_u32 s5, s29, s5
	s_and_b32 vcc_lo, exec_lo, s27
	s_add_i32 s26, s26, 1
	s_cbranch_vccnz .LBB0_7
; %bb.5:                                ;   in Loop: Header=BB0_1 Depth=1
	s_mov_b32 s23, s36
	s_branch .LBB0_1
.LBB0_6:                                ;   in Loop: Header=BB0_1 Depth=1
                                        ; implicit-def: $sgpr36_sgpr37
	s_branch .LBB0_3
.LBB0_7:
	v_cvt_f32_u32_e32 v1, s7
	s_sub_i32 s13, 0, s7
	v_rcp_iflag_f32_e32 v1, v1
	v_mul_f32_e32 v1, 0x4f7ffffe, v1
	v_cvt_u32_f32_e32 v1, v1
	v_readfirstlane_b32 s12, v1
	s_mul_i32 s13, s13, s12
	s_mul_hi_u32 s13, s12, s13
	s_add_i32 s12, s12, s13
	s_mul_hi_u32 s12, s6, s12
	s_mul_i32 s13, s12, s7
	s_sub_i32 s6, s6, s13
	s_add_i32 s13, s12, 1
	s_sub_i32 s23, s6, s7
	s_cmp_ge_u32 s6, s7
	s_cselect_b32 s12, s13, s12
	s_cselect_b32 s6, s23, s6
	s_add_i32 s13, s12, 1
	s_cmp_ge_u32 s6, s7
	s_cselect_b32 s23, s13, s12
.LBB0_8:
	s_lshl_b64 s[6:7], s[10:11], 3
	v_lshl_add_u32 v3, v0, 3, 0
	s_add_u32 s10, s14, s6
	s_addc_u32 s11, s15, s7
	s_mov_b32 s13, 0
	s_load_dwordx2 s[10:11], s[10:11], 0x0
	s_mov_b32 s14, -1
	s_waitcnt lgkmcnt(0)
	s_mul_i32 s11, s11, s23
	s_mul_hi_u32 s12, s10, s23
	s_mul_i32 s10, s10, s23
	s_add_i32 s12, s12, s11
	s_add_u32 s10, s10, s39
	s_addc_u32 s11, s12, s38
	s_add_u32 s6, s24, s6
	s_addc_u32 s7, s25, s7
	s_add_i32 s12, s19, 12
	s_load_dwordx2 s[6:7], s[6:7], 0x0
	s_cmp_le_u32 s12, s33
	s_cselect_b32 s12, -1, 0
	s_and_b32 vcc_lo, exec_lo, s12
	s_cbranch_vccnz .LBB0_12
; %bb.9:
	s_lshl_b64 s[14:15], s[10:11], 3
	v_mov_b32_e32 v2, 0
	v_mov_b32_e32 v4, 0xc1e5
	;; [unrolled: 1-line block ×4, first 2 shown]
	s_add_u32 s14, s0, s14
	s_addc_u32 s15, s1, s15
	s_inst_prefetch 0x1
	.p2align	6
.LBB0_10:                               ; =>This Inner Loop Header: Depth=1
	v_mul_u32_u24_sdwa v1, v5, v4 dst_sel:DWORD dst_unused:UNUSED_PAD src0_sel:WORD_0 src1_sel:DWORD
	v_lshrrev_b32_e32 v10, 23, v1
	v_mul_lo_u16 v1, 0xa9, v10
	v_sub_nc_u16 v1, v5, v1
	v_add_nc_u32_e32 v5, 0x9c, v5
	v_and_b32_e32 v9, 0xffff, v1
	v_mad_u64_u32 v[7:8], null, s20, v9, 0
	v_mov_b32_e32 v1, v8
	v_mad_u64_u32 v[8:9], null, s21, v9, v[1:2]
	v_mul_lo_u32 v1, s22, v10
	v_lshlrev_b64 v[7:8], 3, v[7:8]
	v_lshlrev_b64 v[9:10], 3, v[1:2]
	v_add_co_u32 v1, vcc_lo, s14, v7
	v_add_co_ci_u32_e32 v8, vcc_lo, s15, v8, vcc_lo
	v_add_co_u32 v7, vcc_lo, v1, v9
	v_add_co_ci_u32_e32 v8, vcc_lo, v8, v10, vcc_lo
	v_cmp_lt_u32_e32 vcc_lo, 0x7eb, v5
	global_load_dwordx2 v[7:8], v[7:8], off
	s_or_b32 s13, vcc_lo, s13
	s_waitcnt vmcnt(0)
	ds_write_b64 v6, v[7:8]
	v_add_nc_u32_e32 v6, 0x4e0, v6
	s_andn2_b32 exec_lo, exec_lo, s13
	s_cbranch_execnz .LBB0_10
; %bb.11:
	s_inst_prefetch 0x2
	s_or_b32 exec_lo, exec_lo, s13
	s_mov_b32 s14, 0
.LBB0_12:
	s_and_b32 vcc_lo, exec_lo, s14
	s_cbranch_vccz .LBB0_14
; %bb.13:
	v_mov_b32_e32 v1, 0x184
	v_add_nc_u32_e32 v4, 0x9c, v0
	v_add_nc_u32_e32 v5, 0x138, v0
	;; [unrolled: 1-line block ×4, first 2 shown]
	v_mul_u32_u24_sdwa v1, v0, v1 dst_sel:DWORD dst_unused:UNUSED_PAD src0_sel:WORD_0 src1_sel:DWORD
	v_mul_u32_u24_e32 v2, 0x184, v4
	v_mul_u32_u24_e32 v6, 0x184, v5
	s_lshl_b64 s[10:11], s[10:11], 3
	v_mul_u32_u24_e32 v20, 0x184, v17
	v_lshrrev_b32_e32 v1, 16, v1
	v_lshrrev_b32_e32 v14, 16, v2
	;; [unrolled: 1-line block ×3, first 2 shown]
	v_mov_b32_e32 v2, 0
	s_add_u32 s0, s0, s10
	v_mul_lo_u16 v7, 0xa9, v1
	v_mul_lo_u16 v6, 0xa9, v14
	;; [unrolled: 1-line block ×3, first 2 shown]
	v_mul_lo_u32 v1, s22, v1
	s_addc_u32 s1, s1, s11
	v_sub_nc_u16 v7, v0, v7
	v_sub_nc_u16 v4, v4, v6
	;; [unrolled: 1-line block ×3, first 2 shown]
	v_mul_u32_u24_e32 v8, 0x184, v12
	v_lshrrev_b32_e32 v20, 16, v20
	v_and_b32_e32 v10, 0xffff, v7
	v_and_b32_e32 v13, 0xffff, v4
	;; [unrolled: 1-line block ×3, first 2 shown]
	v_lshrrev_b32_e32 v18, 16, v8
	v_add_nc_u32_e32 v25, 0x4e0, v0
	v_mad_u64_u32 v[4:5], null, s20, v10, 0
	v_mad_u64_u32 v[6:7], null, s20, v13, 0
	;; [unrolled: 1-line block ×3, first 2 shown]
	v_mul_lo_u16 v19, 0xa9, v18
	v_add_nc_u32_e32 v31, 0x750, v0
	v_mad_u64_u32 v[10:11], null, s21, v10, v[5:6]
	v_sub_nc_u16 v19, v12, v19
	v_mad_u64_u32 v[11:12], null, s21, v13, v[7:8]
	v_lshlrev_b64 v[12:13], 3, v[1:2]
	v_mul_lo_u32 v1, s22, v14
	v_and_b32_e32 v19, 0xffff, v19
	v_mov_b32_e32 v5, v10
	v_mad_u64_u32 v[9:10], null, s21, v15, v[9:10]
	v_mov_b32_e32 v7, v11
	v_mad_u64_u32 v[10:11], null, s20, v19, 0
	v_lshlrev_b64 v[4:5], 3, v[4:5]
	v_lshlrev_b64 v[14:15], 3, v[1:2]
	;; [unrolled: 1-line block ×4, first 2 shown]
	v_add_co_u32 v1, vcc_lo, s0, v4
	v_add_co_ci_u32_e32 v5, vcc_lo, s1, v5, vcc_lo
	v_add_co_u32 v6, vcc_lo, s0, v6
	v_add_co_ci_u32_e32 v7, vcc_lo, s1, v7, vcc_lo
	v_add_co_u32 v4, vcc_lo, v1, v12
	v_mov_b32_e32 v1, v11
	v_add_co_ci_u32_e32 v5, vcc_lo, v5, v13, vcc_lo
	v_mul_lo_u16 v13, 0xa9, v20
	v_add_co_u32 v6, vcc_lo, v6, v14
	v_mad_u64_u32 v[11:12], null, s21, v19, v[1:2]
	v_mul_lo_u32 v1, s22, v16
	v_add_nc_u32_e32 v16, 0x30c, v0
	v_sub_nc_u16 v12, v17, v13
	v_add_co_ci_u32_e32 v7, vcc_lo, v7, v15, vcc_lo
	v_add_co_u32 v14, vcc_lo, s0, v8
	v_mul_u32_u24_e32 v19, 0xc1f, v16
	v_and_b32_e32 v17, 0xffff, v12
	v_add_co_ci_u32_e32 v15, vcc_lo, s1, v9, vcc_lo
	v_lshlrev_b64 v[8:9], 3, v[1:2]
	v_mul_lo_u32 v1, s22, v18
	v_lshrrev_b32_e32 v18, 19, v19
	v_mad_u64_u32 v[12:13], null, s20, v17, 0
	v_lshlrev_b64 v[10:11], 3, v[10:11]
	v_add_co_u32 v8, vcc_lo, v14, v8
	v_mul_lo_u16 v19, 0xa9, v18
	v_add_co_ci_u32_e32 v9, vcc_lo, v15, v9, vcc_lo
	v_lshlrev_b64 v[14:15], 3, v[1:2]
	v_mov_b32_e32 v1, v13
	v_sub_nc_u16 v13, v16, v19
	v_add_nc_u32_e32 v19, 0x3a8, v0
	v_add_co_u32 v10, vcc_lo, s0, v10
	v_add_co_ci_u32_e32 v11, vcc_lo, s1, v11, vcc_lo
	v_mul_u32_u24_e32 v21, 0xc1f, v19
	v_and_b32_e32 v16, 0xffff, v13
	v_add_co_u32 v10, vcc_lo, v10, v14
	v_mad_u64_u32 v[13:14], null, s21, v17, v[1:2]
	v_lshrrev_b32_e32 v23, 19, v21
	v_add_co_ci_u32_e32 v11, vcc_lo, v11, v15, vcc_lo
	v_mad_u64_u32 v[14:15], null, s20, v16, 0
	v_mul_lo_u32 v1, s22, v20
	v_mul_lo_u16 v17, 0xa9, v23
	v_add_nc_u32_e32 v20, 0x444, v0
	v_lshlrev_b64 v[12:13], 3, v[12:13]
	s_clause 0x3
	global_load_dwordx2 v[4:5], v[4:5], off
	global_load_dwordx2 v[6:7], v[6:7], off
	;; [unrolled: 1-line block ×4, first 2 shown]
	v_mad_u64_u32 v[15:16], null, s21, v16, v[15:16]
	v_sub_nc_u16 v16, v19, v17
	v_mul_u32_u24_e32 v17, 0xc1f, v20
	v_add_co_u32 v19, vcc_lo, s0, v12
	v_add_co_ci_u32_e32 v21, vcc_lo, s1, v13, vcc_lo
	v_lshrrev_b32_e32 v24, 19, v17
	v_lshlrev_b64 v[12:13], 3, v[1:2]
	v_mul_lo_u32 v1, s22, v18
	v_and_b32_e32 v22, 0xffff, v16
	v_lshlrev_b64 v[14:15], 3, v[14:15]
	v_mul_lo_u16 v18, 0xa9, v24
	v_add_co_u32 v12, vcc_lo, v19, v12
	v_mad_u64_u32 v[16:17], null, s20, v22, 0
	v_sub_nc_u16 v20, v20, v18
	v_lshlrev_b64 v[18:19], 3, v[1:2]
	v_mul_u32_u24_e32 v1, 0xc1f, v25
	v_add_co_ci_u32_e32 v13, vcc_lo, v21, v13, vcc_lo
	v_and_b32_e32 v26, 0xffff, v20
	v_mad_u64_u32 v[20:21], null, s21, v22, v[17:18]
	v_lshrrev_b32_e32 v27, 19, v1
	v_mad_u64_u32 v[21:22], null, s20, v26, 0
	v_add_co_u32 v1, vcc_lo, s0, v14
	v_add_co_ci_u32_e32 v15, vcc_lo, s1, v15, vcc_lo
	v_mov_b32_e32 v17, v20
	v_mul_lo_u16 v20, 0xa9, v27
	v_add_co_u32 v14, vcc_lo, v1, v18
	v_mov_b32_e32 v18, v22
	v_add_co_ci_u32_e32 v15, vcc_lo, v15, v19, vcc_lo
	v_sub_nc_u16 v20, v25, v20
	v_mul_lo_u32 v1, s22, v23
	v_mad_u64_u32 v[18:19], null, s21, v26, v[18:19]
	v_lshlrev_b64 v[16:17], 3, v[16:17]
	v_and_b32_e32 v25, 0xffff, v20
	v_add_nc_u32_e32 v26, 0x57c, v0
	v_mad_u64_u32 v[19:20], null, s20, v25, 0
	v_add_co_u32 v23, vcc_lo, s0, v16
	v_mov_b32_e32 v22, v18
	v_add_co_ci_u32_e32 v28, vcc_lo, s1, v17, vcc_lo
	v_lshlrev_b64 v[16:17], 3, v[1:2]
	v_mul_lo_u32 v1, s22, v24
	v_mov_b32_e32 v18, v20
	v_lshlrev_b64 v[20:21], 3, v[21:22]
	v_mul_u32_u24_e32 v29, 0xc1f, v26
	v_add_co_u32 v16, vcc_lo, v23, v16
	v_add_co_ci_u32_e32 v17, vcc_lo, v28, v17, vcc_lo
	v_lshlrev_b64 v[22:23], 3, v[1:2]
	v_mad_u64_u32 v[24:25], null, s21, v25, v[18:19]
	v_add_co_u32 v18, vcc_lo, s0, v20
	v_add_co_ci_u32_e32 v20, vcc_lo, s1, v21, vcc_lo
	v_lshrrev_b32_e32 v29, 19, v29
	v_add_co_u32 v21, vcc_lo, v18, v22
	v_add_co_ci_u32_e32 v22, vcc_lo, v20, v23, vcc_lo
	s_clause 0x3
	global_load_dwordx2 v[12:13], v[12:13], off
	global_load_dwordx2 v[14:15], v[14:15], off
	;; [unrolled: 1-line block ×4, first 2 shown]
	v_mul_lo_u16 v28, 0xa9, v29
	v_mov_b32_e32 v20, v24
	v_sub_nc_u16 v1, v26, v28
	v_add_nc_u32_e32 v26, 0x618, v0
	v_add_nc_u32_e32 v28, 0x6b4, v0
	v_lshlrev_b64 v[18:19], 3, v[19:20]
	v_and_b32_e32 v25, 0xffff, v1
	v_mul_u32_u24_e32 v1, 0xc1f, v26
	v_mul_u32_u24_e32 v30, 0xc1f, v28
	v_mad_u64_u32 v[23:24], null, s20, v25, 0
	v_lshrrev_b32_e32 v32, 19, v1
	v_mul_lo_u32 v1, s22, v27
	v_lshrrev_b32_e32 v36, 19, v30
	v_mul_lo_u16 v27, 0xa9, v32
	v_mov_b32_e32 v20, v24
	s_waitcnt vmcnt(0)
	v_mad_u64_u32 v[24:25], null, s21, v25, v[20:21]
	v_sub_nc_u16 v20, v26, v27
	v_mul_u32_u24_e32 v25, 0xc1f, v31
	v_add_co_u32 v27, vcc_lo, s0, v18
	v_add_co_ci_u32_e32 v30, vcc_lo, s1, v19, vcc_lo
	v_lshlrev_b64 v[18:19], 3, v[1:2]
	v_and_b32_e32 v33, 0xffff, v20
	v_mul_lo_u16 v1, 0xa9, v36
	v_lshrrev_b32_e32 v37, 19, v25
	v_lshlrev_b64 v[23:24], 3, v[23:24]
	v_mad_u64_u32 v[25:26], null, s20, v33, 0
	v_sub_nc_u16 v20, v28, v1
	v_mul_lo_u16 v1, 0xa9, v37
	v_add_co_u32 v18, vcc_lo, v27, v18
	v_add_co_ci_u32_e32 v19, vcc_lo, v30, v19, vcc_lo
	v_sub_nc_u16 v27, v31, v1
	v_and_b32_e32 v34, 0xffff, v20
	v_mov_b32_e32 v20, v26
	v_mul_lo_u32 v1, s22, v29
	v_and_b32_e32 v35, 0xffff, v27
	v_mad_u64_u32 v[27:28], null, s20, v34, 0
	v_mad_u64_u32 v[29:30], null, s21, v33, v[20:21]
	;; [unrolled: 1-line block ×3, first 2 shown]
	v_add_co_u32 v33, vcc_lo, s0, v23
	v_mov_b32_e32 v20, v28
	v_add_co_ci_u32_e32 v38, vcc_lo, s1, v24, vcc_lo
	v_mov_b32_e32 v26, v29
	v_lshlrev_b64 v[23:24], 3, v[1:2]
	v_mul_lo_u32 v1, s22, v32
	v_mad_u64_u32 v[28:29], null, s21, v34, v[20:21]
	v_mov_b32_e32 v20, v31
	v_lshlrev_b64 v[25:26], 3, v[25:26]
	v_add_co_u32 v23, vcc_lo, v33, v23
	v_add_co_ci_u32_e32 v24, vcc_lo, v38, v24, vcc_lo
	v_mad_u64_u32 v[34:35], null, s21, v35, v[20:21]
	v_lshlrev_b64 v[32:33], 3, v[1:2]
	v_mul_lo_u32 v1, s22, v36
	v_add_co_u32 v20, vcc_lo, s0, v25
	v_add_co_ci_u32_e32 v29, vcc_lo, s1, v26, vcc_lo
	v_mov_b32_e32 v31, v34
	v_lshlrev_b64 v[25:26], 3, v[27:28]
	v_add_co_u32 v27, vcc_lo, v20, v32
	v_add_co_ci_u32_e32 v28, vcc_lo, v29, v33, vcc_lo
	v_lshlrev_b64 v[32:33], 3, v[1:2]
	v_mul_lo_u32 v1, s22, v37
	v_lshlrev_b64 v[29:30], 3, v[30:31]
	v_add_co_u32 v20, vcc_lo, s0, v25
	v_add_co_ci_u32_e32 v26, vcc_lo, s1, v26, vcc_lo
	v_add_co_u32 v29, vcc_lo, s0, v29
	v_lshlrev_b64 v[1:2], 3, v[1:2]
	v_add_co_ci_u32_e32 v30, vcc_lo, s1, v30, vcc_lo
	v_add_co_u32 v25, vcc_lo, v20, v32
	v_add_co_ci_u32_e32 v26, vcc_lo, v26, v33, vcc_lo
	v_add_co_u32 v1, vcc_lo, v29, v1
	v_add_co_ci_u32_e32 v2, vcc_lo, v30, v2, vcc_lo
	s_clause 0x4
	global_load_dwordx2 v[18:19], v[18:19], off
	global_load_dwordx2 v[23:24], v[23:24], off
	;; [unrolled: 1-line block ×5, first 2 shown]
	ds_write2_b64 v3, v[4:5], v[6:7] offset1:156
	v_add_nc_u32_e32 v4, 0x800, v3
	v_add_nc_u32_e32 v5, 0x1200, v3
	;; [unrolled: 1-line block ×5, first 2 shown]
	ds_write2_b64 v4, v[8:9], v[10:11] offset0:56 offset1:212
	ds_write2_b64 v5, v[12:13], v[14:15] offset0:48 offset1:204
	;; [unrolled: 1-line block ×3, first 2 shown]
	s_waitcnt vmcnt(3)
	ds_write2_b64 v7, v[18:19], v[23:24] offset0:96 offset1:252
	s_waitcnt vmcnt(1)
	ds_write2_b64 v20, v[27:28], v[25:26] offset0:24 offset1:180
	s_waitcnt vmcnt(0)
	ds_write_b64 v3, v[1:2] offset:14976
.LBB0_14:
	v_mov_b32_e32 v1, 0x13b2
	v_mul_hi_u32 v3, 0x13b13b14, v0
	s_waitcnt lgkmcnt(0)
	s_barrier
	buffer_gl0_inv
	v_mul_u32_u24_sdwa v1, v0, v1 dst_sel:DWORD dst_unused:UNUSED_PAD src0_sel:WORD_0 src1_sel:DWORD
	v_mul_u32_u24_e32 v3, 13, v3
	v_add_nc_u32_sdwa v1, s19, v1 dst_sel:DWORD dst_unused:UNUSED_PAD src0_sel:DWORD src1_sel:WORD_1
	v_sub_nc_u32_e32 v13, v0, v3
	v_mul_hi_u32 v2, 0xaaaaaaab, v1
	v_lshrrev_b32_e32 v2, 3, v2
	v_mul_lo_u32 v2, v2, 12
	v_sub_nc_u32_e32 v1, v1, v2
	v_lshlrev_b32_e32 v2, 3, v13
	v_mul_u32_u24_e32 v1, 0xa9, v1
	v_lshlrev_b32_e32 v1, 3, v1
	v_add_nc_u32_e32 v14, 0, v1
	v_add3_u32 v11, 0, v2, v1
	ds_read2_b64 v[15:18], v11 offset0:13 offset1:26
	ds_read2_b64 v[19:22], v11 offset0:143 offset1:156
	v_add_nc_u32_e32 v12, v14, v2
	v_mad_u32_u24 v14, 0x68, v13, v14
	ds_read_b64 v[9:10], v12
	ds_read2_b64 v[23:26], v11 offset0:39 offset1:52
	ds_read2_b64 v[1:4], v11 offset0:65 offset1:78
	;; [unrolled: 1-line block ×4, first 2 shown]
	s_waitcnt lgkmcnt(0)
	s_barrier
	buffer_gl0_inv
	v_add_f32_e32 v31, v21, v15
	v_add_f32_e32 v32, v22, v16
	v_sub_f32_e32 v33, v15, v21
	v_sub_f32_e32 v34, v16, v22
	v_add_f32_e32 v15, v9, v15
	v_add_f32_e32 v16, v10, v16
	v_mul_f32_e32 v40, 0x3f62ad3f, v32
	v_mul_f32_e32 v42, 0x3f116cb1, v32
	v_mul_f32_e32 v39, 0xbeedf032, v34
	v_add_f32_e32 v15, v15, v17
	v_add_f32_e32 v16, v16, v18
	v_mul_f32_e32 v41, 0xbf52af12, v34
	v_mul_f32_e32 v43, 0xbf7e222b, v34
	v_mul_f32_e32 v44, 0x3df6dbef, v32
	v_add_f32_e32 v15, v15, v23
	v_add_f32_e32 v16, v16, v24
	v_mul_f32_e32 v45, 0xbf6f5d39, v34
	v_mul_f32_e32 v46, 0xbeb58ec6, v32
	v_mul_f32_e32 v47, 0xbf29c268, v34
	v_add_f32_e32 v15, v15, v25
	v_add_f32_e32 v16, v16, v26
	v_mul_f32_e32 v48, 0xbf3f9e67, v32
	v_mul_f32_e32 v34, 0xbe750f2a, v34
	v_mul_f32_e32 v32, 0xbf788fa5, v32
	v_add_f32_e32 v15, v15, v1
	v_add_f32_e32 v16, v16, v2
	;; [unrolled: 1-line block ×4, first 2 shown]
	v_sub_f32_e32 v37, v17, v19
	v_sub_f32_e32 v38, v18, v20
	v_fmamk_f32 v17, v31, 0x3f62ad3f, v39
	v_fmamk_f32 v18, v33, 0x3eedf032, v40
	v_fma_f32 v39, 0x3f62ad3f, v31, -v39
	v_fmac_f32_e32 v40, 0xbeedf032, v33
	v_fmamk_f32 v51, v31, 0x3f116cb1, v41
	v_fmamk_f32 v52, v33, 0x3f52af12, v42
	v_fma_f32 v41, 0x3f116cb1, v31, -v41
	v_fmac_f32_e32 v42, 0xbf52af12, v33
	;; [unrolled: 4-line block ×5, first 2 shown]
	v_fmamk_f32 v59, v31, 0xbf788fa5, v34
	v_fma_f32 v31, 0xbf788fa5, v31, -v34
	v_fmamk_f32 v34, v33, 0x3e750f2a, v32
	v_fmac_f32_e32 v32, 0xbe750f2a, v33
	v_add_f32_e32 v15, v15, v3
	v_add_f32_e32 v16, v16, v4
	;; [unrolled: 1-line block ×16, first 2 shown]
	v_mul_f32_e32 v49, 0xbf52af12, v38
	v_mul_f32_e32 v50, 0x3f116cb1, v36
	v_add_f32_e32 v17, v9, v17
	v_add_f32_e32 v10, v10, v7
	;; [unrolled: 1-line block ×3, first 2 shown]
	v_fmamk_f32 v33, v35, 0x3f116cb1, v49
	v_add_f32_e32 v39, v9, v39
	v_add_f32_e32 v51, v9, v51
	;; [unrolled: 1-line block ×13, first 2 shown]
	v_mul_f32_e32 v9, 0xbf6f5d39, v38
	v_fmamk_f32 v16, v37, 0x3f52af12, v50
	v_add_f32_e32 v17, v33, v17
	v_mul_f32_e32 v33, 0xbeb58ec6, v36
	v_fma_f32 v49, 0x3f116cb1, v35, -v49
	v_fmac_f32_e32 v50, 0xbf52af12, v37
	v_add_f32_e32 v10, v10, v29
	v_add_f32_e32 v15, v15, v30
	v_fma_f32 v60, 0xbeb58ec6, v35, -v9
	v_add_f32_e32 v39, v49, v39
	v_fmamk_f32 v49, v35, 0xbeb58ec6, v9
	v_add_f32_e32 v40, v50, v40
	v_fmamk_f32 v50, v37, 0x3f6f5d39, v33
	v_add_f32_e32 v9, v10, v19
	v_add_f32_e32 v10, v15, v20
	v_fmac_f32_e32 v33, 0xbf6f5d39, v37
	v_mul_f32_e32 v20, 0xbf788fa5, v36
	v_add_f32_e32 v16, v16, v18
	v_mul_f32_e32 v18, 0xbe750f2a, v38
	v_add_f32_e32 v10, v10, v22
	v_add_f32_e32 v22, v60, v41
	v_add_f32_e32 v33, v33, v42
	v_mul_f32_e32 v41, 0x3f29c268, v38
	v_fmamk_f32 v42, v37, 0x3e750f2a, v20
	v_fmac_f32_e32 v20, 0xbe750f2a, v37
	v_add_f32_e32 v15, v49, v51
	v_add_f32_e32 v19, v50, v52
	;; [unrolled: 1-line block ×3, first 2 shown]
	v_fmamk_f32 v21, v35, 0xbf788fa5, v18
	v_fma_f32 v18, 0xbf788fa5, v35, -v18
	v_fmamk_f32 v49, v35, 0xbf3f9e67, v41
	v_mul_f32_e32 v50, 0xbf3f9e67, v36
	v_add_f32_e32 v20, v20, v44
	v_mul_f32_e32 v44, 0x3f7e222b, v38
	v_add_f32_e32 v18, v18, v43
	v_add_f32_e32 v43, v49, v55
	v_fmamk_f32 v49, v37, 0xbf29c268, v50
	v_fma_f32 v41, 0xbf3f9e67, v35, -v41
	v_mul_f32_e32 v51, 0x3df6dbef, v36
	v_fmac_f32_e32 v50, 0x3f29c268, v37
	v_fmamk_f32 v52, v35, 0x3df6dbef, v44
	v_mul_f32_e32 v38, 0x3eedf032, v38
	v_fma_f32 v44, 0x3df6dbef, v35, -v44
	v_add_f32_e32 v41, v41, v45
	v_fmamk_f32 v45, v37, 0xbf7e222b, v51
	v_add_f32_e32 v46, v50, v46
	v_add_f32_e32 v50, v52, v57
	v_mul_f32_e32 v36, 0x3f62ad3f, v36
	v_fmac_f32_e32 v51, 0x3f7e222b, v37
	v_fmamk_f32 v52, v35, 0x3f62ad3f, v38
	v_add_f32_e32 v44, v44, v47
	v_sub_f32_e32 v47, v24, v30
	v_add_f32_e32 v21, v21, v53
	v_add_f32_e32 v42, v42, v54
	v_fmamk_f32 v53, v37, 0xbeedf032, v36
	v_add_f32_e32 v48, v51, v48
	v_add_f32_e32 v51, v52, v59
	;; [unrolled: 1-line block ×3, first 2 shown]
	v_mul_f32_e32 v54, 0xbf7e222b, v47
	v_add_f32_e32 v24, v30, v24
	v_fma_f32 v30, 0x3f62ad3f, v35, -v38
	v_fmac_f32_e32 v36, 0x3eedf032, v37
	v_sub_f32_e32 v23, v23, v29
	v_fmamk_f32 v35, v52, 0x3df6dbef, v54
	v_mul_f32_e32 v29, 0x3df6dbef, v24
	v_add_f32_e32 v30, v30, v31
	v_add_f32_e32 v31, v36, v32
	v_mul_f32_e32 v32, 0xbe750f2a, v47
	v_add_f32_e32 v17, v35, v17
	v_fmamk_f32 v35, v23, 0x3f7e222b, v29
	v_fma_f32 v36, 0x3df6dbef, v52, -v54
	v_mul_f32_e32 v37, 0xbf788fa5, v24
	v_fmamk_f32 v38, v52, 0xbf788fa5, v32
	v_fma_f32 v32, 0xbf788fa5, v52, -v32
	v_add_f32_e32 v16, v35, v16
	v_add_f32_e32 v35, v36, v39
	v_fmamk_f32 v36, v23, 0x3e750f2a, v37
	v_add_f32_e32 v15, v38, v15
	v_mul_f32_e32 v38, 0x3f6f5d39, v47
	v_fmac_f32_e32 v37, 0xbe750f2a, v23
	v_fmac_f32_e32 v29, 0xbf7e222b, v23
	v_add_f32_e32 v19, v36, v19
	v_mul_f32_e32 v36, 0xbeb58ec6, v24
	v_fmamk_f32 v39, v52, 0xbeb58ec6, v38
	v_add_f32_e32 v22, v32, v22
	v_add_f32_e32 v32, v37, v33
	v_mul_f32_e32 v33, 0x3eedf032, v47
	v_fma_f32 v38, 0xbeb58ec6, v52, -v38
	v_add_f32_e32 v29, v29, v40
	v_fmamk_f32 v37, v23, 0xbf6f5d39, v36
	v_add_f32_e32 v21, v39, v21
	v_fmac_f32_e32 v36, 0x3f6f5d39, v23
	v_fmamk_f32 v39, v52, 0x3f62ad3f, v33
	v_mul_f32_e32 v40, 0x3f62ad3f, v24
	v_add_f32_e32 v18, v38, v18
	v_mul_f32_e32 v38, 0xbf52af12, v47
	v_add_f32_e32 v37, v37, v42
	v_add_f32_e32 v20, v36, v20
	;; [unrolled: 1-line block ×3, first 2 shown]
	v_fmamk_f32 v39, v23, 0xbeedf032, v40
	v_fma_f32 v33, 0x3f62ad3f, v52, -v33
	v_mul_f32_e32 v42, 0x3f116cb1, v24
	v_fmac_f32_e32 v40, 0x3eedf032, v23
	v_fmamk_f32 v43, v52, 0x3f116cb1, v38
	v_fma_f32 v38, 0x3f116cb1, v52, -v38
	v_add_f32_e32 v49, v49, v56
	v_add_f32_e32 v33, v33, v41
	v_fmamk_f32 v41, v23, 0x3f52af12, v42
	v_add_f32_e32 v40, v40, v46
	v_mul_f32_e32 v46, 0xbf29c268, v47
	v_fmac_f32_e32 v42, 0xbf52af12, v23
	v_add_f32_e32 v38, v38, v44
	v_sub_f32_e32 v44, v26, v28
	v_add_f32_e32 v26, v28, v26
	v_add_f32_e32 v45, v45, v58
	;; [unrolled: 1-line block ×3, first 2 shown]
	v_mul_f32_e32 v24, 0xbf3f9e67, v24
	v_add_f32_e32 v42, v42, v48
	v_add_f32_e32 v48, v27, v25
	v_mul_f32_e32 v49, 0xbf6f5d39, v44
	v_fma_f32 v28, 0xbf3f9e67, v52, -v46
	v_sub_f32_e32 v25, v25, v27
	v_mul_f32_e32 v27, 0xbeb58ec6, v26
	v_add_f32_e32 v41, v41, v45
	v_fmamk_f32 v45, v52, 0xbf3f9e67, v46
	v_fmamk_f32 v47, v23, 0x3f29c268, v24
	v_fmac_f32_e32 v24, 0xbf29c268, v23
	v_fmamk_f32 v23, v48, 0xbeb58ec6, v49
	v_add_f32_e32 v28, v28, v30
	v_fmamk_f32 v30, v25, 0x3f6f5d39, v27
	v_fmac_f32_e32 v27, 0xbf6f5d39, v25
	v_mul_f32_e32 v46, 0xbf3f9e67, v26
	v_add_f32_e32 v34, v53, v34
	v_add_f32_e32 v24, v24, v31
	;; [unrolled: 1-line block ×3, first 2 shown]
	v_mul_f32_e32 v23, 0x3f29c268, v44
	v_fma_f32 v31, 0xbeb58ec6, v48, -v49
	v_add_f32_e32 v27, v27, v29
	v_fmamk_f32 v29, v25, 0xbf29c268, v46
	v_add_f32_e32 v34, v47, v34
	v_fmamk_f32 v47, v48, 0xbf3f9e67, v23
	v_add_f32_e32 v16, v30, v16
	v_add_f32_e32 v30, v31, v35
	v_mul_f32_e32 v31, 0x3eedf032, v44
	v_fma_f32 v23, 0xbf3f9e67, v48, -v23
	v_fmac_f32_e32 v46, 0x3f29c268, v25
	v_add_f32_e32 v19, v29, v19
	v_mul_f32_e32 v29, 0x3f62ad3f, v26
	v_fmamk_f32 v35, v48, 0x3f62ad3f, v31
	v_add_f32_e32 v22, v23, v22
	v_add_f32_e32 v23, v46, v32
	v_mul_f32_e32 v32, 0xbf7e222b, v44
	v_fmamk_f32 v46, v25, 0xbeedf032, v29
	v_fma_f32 v31, 0x3f62ad3f, v48, -v31
	v_add_f32_e32 v21, v35, v21
	v_fmac_f32_e32 v29, 0x3eedf032, v25
	v_fmamk_f32 v35, v48, 0x3df6dbef, v32
	v_add_f32_e32 v37, v46, v37
	v_mul_f32_e32 v46, 0x3df6dbef, v26
	v_add_f32_e32 v18, v31, v18
	v_mul_f32_e32 v31, 0x3e750f2a, v44
	v_add_f32_e32 v43, v43, v50
	v_add_f32_e32 v15, v47, v15
	;; [unrolled: 1-line block ×4, first 2 shown]
	v_fmamk_f32 v35, v25, 0x3f7e222b, v46
	v_fma_f32 v32, 0x3df6dbef, v48, -v32
	v_mul_f32_e32 v36, 0xbf788fa5, v26
	v_fmac_f32_e32 v46, 0xbf7e222b, v25
	v_fmamk_f32 v47, v48, 0xbf788fa5, v31
	v_add_f32_e32 v35, v35, v39
	v_add_f32_e32 v32, v32, v33
	v_fmamk_f32 v33, v25, 0xbe750f2a, v36
	v_add_f32_e32 v39, v46, v40
	v_add_f32_e32 v40, v47, v43
	v_mul_f32_e32 v43, 0x3f52af12, v44
	v_fma_f32 v31, 0xbf788fa5, v48, -v31
	v_add_f32_e32 v45, v45, v51
	v_add_f32_e32 v33, v33, v41
	v_mul_f32_e32 v26, 0x3f116cb1, v26
	v_fmac_f32_e32 v36, 0x3e750f2a, v25
	v_fmamk_f32 v41, v48, 0x3f116cb1, v43
	v_add_f32_e32 v31, v31, v38
	v_sub_f32_e32 v38, v2, v8
	v_add_f32_e32 v2, v8, v2
	v_fmamk_f32 v44, v25, 0xbf52af12, v26
	v_add_f32_e32 v36, v36, v42
	v_add_f32_e32 v41, v41, v45
	;; [unrolled: 1-line block ×3, first 2 shown]
	v_mul_f32_e32 v45, 0xbf29c268, v38
	v_fmac_f32_e32 v26, 0x3f52af12, v25
	v_sub_f32_e32 v1, v1, v7
	v_mul_f32_e32 v7, 0xbf3f9e67, v2
	v_fma_f32 v8, 0x3f116cb1, v48, -v43
	v_fmamk_f32 v25, v42, 0xbf3f9e67, v45
	v_add_f32_e32 v24, v26, v24
	v_mul_f32_e32 v43, 0x3df6dbef, v2
	v_fmamk_f32 v26, v1, 0x3f29c268, v7
	v_fmac_f32_e32 v7, 0xbf29c268, v1
	v_add_f32_e32 v8, v8, v28
	v_add_f32_e32 v17, v25, v17
	v_mul_f32_e32 v25, 0x3f7e222b, v38
	v_fma_f32 v28, 0xbf3f9e67, v42, -v45
	v_add_f32_e32 v7, v7, v27
	v_fmamk_f32 v27, v1, 0xbf7e222b, v43
	v_add_f32_e32 v34, v44, v34
	v_fmamk_f32 v44, v42, 0x3df6dbef, v25
	v_add_f32_e32 v16, v26, v16
	v_add_f32_e32 v26, v28, v30
	v_mul_f32_e32 v28, 0xbf52af12, v38
	v_fma_f32 v25, 0x3df6dbef, v42, -v25
	v_fmac_f32_e32 v43, 0x3f7e222b, v1
	v_add_f32_e32 v19, v27, v19
	v_mul_f32_e32 v27, 0x3f116cb1, v2
	v_fmamk_f32 v30, v42, 0x3f116cb1, v28
	v_add_f32_e32 v22, v25, v22
	v_add_f32_e32 v23, v43, v23
	v_mul_f32_e32 v25, 0x3e750f2a, v38
	v_fmamk_f32 v43, v1, 0x3f52af12, v27
	v_fma_f32 v28, 0x3f116cb1, v42, -v28
	v_add_f32_e32 v21, v30, v21
	v_fmac_f32_e32 v27, 0xbf52af12, v1
	v_fmamk_f32 v30, v42, 0xbf788fa5, v25
	v_add_f32_e32 v37, v43, v37
	v_mul_f32_e32 v43, 0xbf788fa5, v2
	v_add_f32_e32 v18, v28, v18
	v_mul_f32_e32 v28, 0x3eedf032, v38
	v_add_f32_e32 v15, v44, v15
	v_add_f32_e32 v20, v27, v20
	;; [unrolled: 1-line block ×3, first 2 shown]
	v_fmamk_f32 v29, v1, 0xbe750f2a, v43
	v_fma_f32 v25, 0xbf788fa5, v42, -v25
	v_mul_f32_e32 v30, 0x3f62ad3f, v2
	v_fmac_f32_e32 v43, 0x3e750f2a, v1
	v_fmamk_f32 v44, v42, 0x3f62ad3f, v28
	v_mul_f32_e32 v2, 0xbeb58ec6, v2
	v_add_f32_e32 v29, v29, v35
	v_add_f32_e32 v25, v25, v32
	v_fmamk_f32 v32, v1, 0xbeedf032, v30
	v_add_f32_e32 v35, v43, v39
	v_add_f32_e32 v39, v44, v40
	v_mul_f32_e32 v38, 0xbf6f5d39, v38
	v_fma_f32 v28, 0x3f62ad3f, v42, -v28
	v_fmamk_f32 v40, v1, 0x3f6f5d39, v2
	v_add_f32_e32 v32, v32, v33
	v_fmac_f32_e32 v30, 0x3eedf032, v1
	v_fmamk_f32 v33, v42, 0xbeb58ec6, v38
	v_add_f32_e32 v28, v28, v31
	v_sub_f32_e32 v31, v4, v6
	v_add_f32_e32 v34, v40, v34
	v_add_f32_e32 v40, v6, v4
	;; [unrolled: 1-line block ×5, first 2 shown]
	v_mul_f32_e32 v41, 0xbe750f2a, v31
	v_fma_f32 v4, 0xbeb58ec6, v42, -v38
	v_fmac_f32_e32 v2, 0xbf6f5d39, v1
	v_sub_f32_e32 v38, v3, v5
	v_mul_f32_e32 v5, 0xbf788fa5, v40
	v_fmamk_f32 v1, v36, 0xbf788fa5, v41
	v_add_f32_e32 v42, v4, v8
	v_add_f32_e32 v43, v2, v24
	v_mul_f32_e32 v6, 0x3eedf032, v31
	v_fmamk_f32 v2, v38, 0x3e750f2a, v5
	v_fmac_f32_e32 v5, 0xbe750f2a, v38
	v_mul_f32_e32 v8, 0x3f62ad3f, v40
	v_add_f32_e32 v1, v1, v17
	v_fmamk_f32 v17, v36, 0x3f62ad3f, v6
	v_add_f32_e32 v2, v2, v16
	v_add_f32_e32 v4, v5, v7
	v_fmamk_f32 v7, v38, 0xbeedf032, v8
	v_mul_f32_e32 v16, 0xbf29c268, v31
	v_add_f32_e32 v5, v17, v15
	v_fma_f32 v15, 0x3f62ad3f, v36, -v6
	v_fmac_f32_e32 v8, 0x3eedf032, v38
	v_add_f32_e32 v6, v7, v19
	v_mul_f32_e32 v19, 0xbf3f9e67, v40
	v_fmamk_f32 v17, v36, 0xbf3f9e67, v16
	v_add_f32_e32 v7, v15, v22
	v_add_f32_e32 v8, v8, v23
	v_mul_f32_e32 v22, 0x3f52af12, v31
	v_fmamk_f32 v23, v38, 0x3f29c268, v19
	v_fma_f32 v3, 0xbf788fa5, v36, -v41
	v_add_f32_e32 v15, v17, v21
	v_fma_f32 v17, 0xbf3f9e67, v36, -v16
	v_fmac_f32_e32 v19, 0xbf29c268, v38
	v_fmamk_f32 v21, v36, 0x3f116cb1, v22
	v_add_f32_e32 v16, v23, v37
	v_mul_f32_e32 v23, 0x3f116cb1, v40
	v_mul_f32_e32 v24, 0xbf6f5d39, v31
	v_add_f32_e32 v3, v3, v26
	v_add_f32_e32 v17, v17, v18
	;; [unrolled: 1-line block ×4, first 2 shown]
	v_fmamk_f32 v20, v38, 0xbf52af12, v23
	v_fma_f32 v21, 0x3f116cb1, v36, -v22
	v_fmac_f32_e32 v23, 0x3f52af12, v38
	v_mul_f32_e32 v26, 0xbeb58ec6, v40
	v_fmamk_f32 v27, v36, 0xbeb58ec6, v24
	v_add_f32_e32 v20, v20, v29
	v_add_f32_e32 v21, v21, v25
	;; [unrolled: 1-line block ×3, first 2 shown]
	v_fmamk_f32 v25, v38, 0x3f6f5d39, v26
	v_add_f32_e32 v23, v27, v39
	v_fma_f32 v27, 0xbeb58ec6, v36, -v24
	v_mul_f32_e32 v29, 0x3f7e222b, v31
	v_mul_f32_e32 v31, 0x3df6dbef, v40
	ds_write2_b64 v14, v[9:10], v[1:2] offset1:1
	ds_write2_b64 v14, v[5:6], v[15:16] offset0:2 offset1:3
	v_mul_u32_u24_e32 v1, 12, v13
	v_add_f32_e32 v24, v25, v32
	v_fmac_f32_e32 v26, 0xbf6f5d39, v38
	v_add_f32_e32 v25, v27, v28
	v_fmamk_f32 v27, v36, 0x3df6dbef, v29
	v_fmamk_f32 v28, v38, 0xbf7e222b, v31
	v_fma_f32 v29, 0x3df6dbef, v36, -v29
	v_fmac_f32_e32 v31, 0x3f7e222b, v38
	v_lshlrev_b32_e32 v5, 3, v1
	v_add_f32_e32 v26, v26, v30
	v_add_f32_e32 v27, v27, v33
	;; [unrolled: 1-line block ×5, first 2 shown]
	ds_write2_b64 v14, v[19:20], v[23:24] offset0:4 offset1:5
	ds_write2_b64 v14, v[27:28], v[29:30] offset0:6 offset1:7
	ds_write2_b64 v14, v[25:26], v[21:22] offset0:8 offset1:9
	ds_write2_b64 v14, v[17:18], v[7:8] offset0:10 offset1:11
	ds_write_b64 v14, v[3:4] offset:96
	s_waitcnt lgkmcnt(0)
	s_barrier
	buffer_gl0_inv
	s_clause 0x5
	global_load_dwordx4 v[1:4], v5, s[8:9]
	global_load_dwordx4 v[6:9], v5, s[8:9] offset:16
	global_load_dwordx4 v[13:16], v5, s[8:9] offset:32
	global_load_dwordx4 v[17:20], v5, s[8:9] offset:48
	global_load_dwordx4 v[21:24], v5, s[8:9] offset:64
	global_load_dwordx4 v[25:28], v5, s[8:9] offset:80
	ds_read2_b64 v[29:32], v11 offset0:13 offset1:26
	ds_read_b64 v[49:50], v11 offset:312
	ds_read2_b32 v[51:52], v11 offset0:104 offset1:105
	ds_read2_b64 v[33:36], v11 offset0:65 offset1:78
	ds_read_b64 v[53:54], v12
	ds_read2_b64 v[37:40], v11 offset0:91 offset1:104
	ds_read2_b64 v[41:44], v11 offset0:117 offset1:130
	;; [unrolled: 1-line block ×3, first 2 shown]
	s_waitcnt vmcnt(0) lgkmcnt(0)
	s_barrier
	buffer_gl0_inv
	v_mul_f32_e32 v10, v2, v30
	v_mul_f32_e32 v2, v2, v29
	;; [unrolled: 1-line block ×4, first 2 shown]
	v_fmac_f32_e32 v10, v1, v29
	v_fma_f32 v1, v1, v30, -v2
	v_mul_f32_e32 v2, v7, v49
	v_mul_f32_e32 v29, v7, v50
	v_fmac_f32_e32 v12, v3, v31
	v_fma_f32 v30, v3, v32, -v4
	v_mul_f32_e32 v31, v52, v9
	v_mul_f32_e32 v3, v9, v51
	v_fma_f32 v32, v6, v50, -v2
	v_mul_f32_e32 v2, v33, v14
	v_fmac_f32_e32 v29, v6, v49
	v_mul_f32_e32 v7, v34, v14
	v_fmac_f32_e32 v31, v8, v51
	v_fma_f32 v14, v52, v8, -v3
	v_fma_f32 v8, v34, v13, -v2
	v_mul_f32_e32 v2, v35, v16
	v_add_f32_e32 v6, v10, v53
	v_add_f32_e32 v9, v1, v54
	v_mul_f32_e32 v3, v36, v16
	v_fmac_f32_e32 v7, v33, v13
	v_fma_f32 v5, v36, v15, -v2
	v_add_f32_e32 v2, v6, v12
	v_add_f32_e32 v6, v9, v30
	v_fmac_f32_e32 v3, v35, v15
	v_mul_f32_e32 v4, v38, v18
	v_mul_f32_e32 v13, v37, v18
	v_add_f32_e32 v2, v2, v29
	v_add_f32_e32 v15, v6, v32
	v_mul_f32_e32 v9, v40, v20
	v_fmac_f32_e32 v4, v37, v17
	v_fma_f32 v6, v38, v17, -v13
	v_add_f32_e32 v2, v2, v31
	v_add_f32_e32 v15, v15, v14
	v_mul_f32_e32 v13, v39, v20
	v_mul_f32_e32 v16, v42, v22
	;; [unrolled: 1-line block ×3, first 2 shown]
	v_add_f32_e32 v2, v2, v7
	v_add_f32_e32 v15, v15, v8
	v_fmac_f32_e32 v9, v39, v19
	v_fma_f32 v13, v40, v19, -v13
	v_fmac_f32_e32 v16, v41, v21
	v_add_f32_e32 v2, v2, v3
	v_add_f32_e32 v15, v15, v5
	v_mul_f32_e32 v18, v44, v24
	v_fma_f32 v17, v42, v21, -v17
	v_mul_f32_e32 v19, v43, v24
	v_add_f32_e32 v2, v2, v4
	v_add_f32_e32 v15, v15, v6
	v_mul_f32_e32 v21, v47, v28
	v_fmac_f32_e32 v18, v43, v23
	v_fma_f32 v19, v44, v23, -v19
	v_add_f32_e32 v2, v2, v9
	v_add_f32_e32 v15, v15, v13
	v_mul_f32_e32 v22, v48, v28
	v_fma_f32 v21, v48, v27, -v21
	v_mul_f32_e32 v23, v45, v26
	v_mul_f32_e32 v20, v46, v26
	v_add_f32_e32 v2, v2, v16
	v_add_f32_e32 v15, v15, v17
	v_fmac_f32_e32 v22, v47, v27
	v_sub_f32_e32 v24, v1, v21
	v_fma_f32 v23, v46, v25, -v23
	v_fmac_f32_e32 v20, v45, v25
	v_add_f32_e32 v2, v2, v18
	v_add_f32_e32 v15, v15, v19
	;; [unrolled: 1-line block ×3, first 2 shown]
	v_mul_f32_e32 v26, 0xbeedf032, v24
	v_add_f32_e32 v27, v1, v21
	v_sub_f32_e32 v49, v30, v23
	v_add_f32_e32 v1, v2, v20
	v_add_f32_e32 v2, v15, v23
	v_fmamk_f32 v15, v25, 0x3f62ad3f, v26
	v_sub_f32_e32 v10, v10, v22
	v_mul_f32_e32 v28, 0x3f62ad3f, v27
	v_mul_f32_e32 v33, 0x3f116cb1, v27
	;; [unrolled: 1-line block ×6, first 2 shown]
	v_add_f32_e32 v51, v12, v20
	v_mul_f32_e32 v52, 0xbf52af12, v49
	v_add_f32_e32 v1, v1, v22
	v_add_f32_e32 v2, v2, v21
	;; [unrolled: 1-line block ×3, first 2 shown]
	v_mul_f32_e32 v21, 0xbf52af12, v24
	v_fmamk_f32 v22, v10, 0x3eedf032, v28
	v_fmac_f32_e32 v28, 0xbeedf032, v10
	v_fmamk_f32 v35, v10, 0x3f52af12, v33
	v_mul_f32_e32 v36, 0xbf7e222b, v24
	v_fmac_f32_e32 v33, 0xbf52af12, v10
	v_mul_f32_e32 v39, 0xbf6f5d39, v24
	v_fmamk_f32 v40, v10, 0x3f7e222b, v37
	v_fmac_f32_e32 v37, 0xbf7e222b, v10
	v_mul_f32_e32 v43, 0xbf29c268, v24
	v_fmamk_f32 v44, v10, 0x3f6f5d39, v42
	v_fmac_f32_e32 v42, 0xbf6f5d39, v10
	v_fmamk_f32 v47, v10, 0x3f29c268, v45
	v_mul_f32_e32 v24, 0xbe750f2a, v24
	v_fmac_f32_e32 v45, 0xbf29c268, v10
	v_fmamk_f32 v50, v10, 0x3e750f2a, v27
	v_add_f32_e32 v23, v30, v23
	v_fmac_f32_e32 v27, 0xbe750f2a, v10
	v_fmamk_f32 v10, v51, 0x3f116cb1, v52
	v_fma_f32 v26, 0x3f62ad3f, v25, -v26
	v_fmamk_f32 v34, v25, 0x3f116cb1, v21
	v_fma_f32 v21, 0x3f116cb1, v25, -v21
	;; [unrolled: 2-line block ×6, first 2 shown]
	v_sub_f32_e32 v12, v12, v20
	v_mul_f32_e32 v20, 0x3f116cb1, v23
	v_add_f32_e32 v10, v10, v15
	v_mul_f32_e32 v15, 0xbf6f5d39, v49
	v_add_f32_e32 v22, v22, v54
	v_add_f32_e32 v26, v26, v53
	;; [unrolled: 1-line block ×14, first 2 shown]
	v_fmamk_f32 v27, v12, 0x3f52af12, v20
	v_fma_f32 v30, 0x3f116cb1, v51, -v52
	v_fmac_f32_e32 v20, 0xbf52af12, v12
	v_mul_f32_e32 v52, 0xbeb58ec6, v23
	v_fmamk_f32 v53, v51, 0xbeb58ec6, v15
	v_add_f32_e32 v35, v35, v54
	v_add_f32_e32 v33, v33, v54
	v_add_f32_e32 v22, v27, v22
	v_add_f32_e32 v26, v30, v26
	v_add_f32_e32 v20, v20, v28
	v_fmamk_f32 v27, v12, 0x3f6f5d39, v52
	v_add_f32_e32 v28, v53, v34
	v_mul_f32_e32 v30, 0xbe750f2a, v49
	v_fma_f32 v15, 0xbeb58ec6, v51, -v15
	v_fmac_f32_e32 v52, 0xbf6f5d39, v12
	v_mul_f32_e32 v34, 0xbf788fa5, v23
	v_add_f32_e32 v40, v40, v54
	v_add_f32_e32 v37, v37, v54
	;; [unrolled: 1-line block ×3, first 2 shown]
	v_fmamk_f32 v35, v51, 0xbf788fa5, v30
	v_add_f32_e32 v15, v15, v21
	v_add_f32_e32 v21, v52, v33
	v_mul_f32_e32 v33, 0x3f29c268, v49
	v_fmamk_f32 v52, v12, 0x3e750f2a, v34
	v_fmac_f32_e32 v34, 0xbe750f2a, v12
	v_add_f32_e32 v35, v35, v38
	v_fma_f32 v30, 0xbf788fa5, v51, -v30
	v_fmamk_f32 v38, v51, 0xbf3f9e67, v33
	v_add_f32_e32 v40, v52, v40
	v_mul_f32_e32 v52, 0xbf3f9e67, v23
	v_add_f32_e32 v34, v34, v37
	v_mul_f32_e32 v37, 0x3f7e222b, v49
	v_add_f32_e32 v44, v44, v54
	v_add_f32_e32 v30, v30, v36
	;; [unrolled: 1-line block ×3, first 2 shown]
	v_fmamk_f32 v38, v12, 0xbf29c268, v52
	v_fma_f32 v33, 0xbf3f9e67, v51, -v33
	v_mul_f32_e32 v41, 0x3df6dbef, v23
	v_fmamk_f32 v53, v51, 0x3df6dbef, v37
	v_add_f32_e32 v47, v47, v54
	v_add_f32_e32 v38, v38, v44
	;; [unrolled: 1-line block ×3, first 2 shown]
	v_fmamk_f32 v39, v12, 0xbf7e222b, v41
	v_add_f32_e32 v44, v53, v46
	v_mul_f32_e32 v46, 0x3eedf032, v49
	v_fma_f32 v37, 0x3df6dbef, v51, -v37
	v_add_f32_e32 v45, v45, v54
	v_add_f32_e32 v39, v39, v47
	v_fmac_f32_e32 v41, 0x3f7e222b, v12
	v_fmamk_f32 v47, v51, 0x3f62ad3f, v46
	v_add_f32_e32 v37, v37, v43
	v_sub_f32_e32 v43, v32, v19
	v_mul_f32_e32 v23, 0x3f62ad3f, v23
	v_add_f32_e32 v41, v41, v45
	v_add_f32_e32 v45, v47, v48
	;; [unrolled: 1-line block ×3, first 2 shown]
	v_mul_f32_e32 v48, 0xbf7e222b, v43
	v_add_f32_e32 v19, v32, v19
	v_fmac_f32_e32 v52, 0x3f29c268, v12
	v_fmamk_f32 v49, v12, 0xbeedf032, v23
	v_fma_f32 v32, 0x3f62ad3f, v51, -v46
	v_fmac_f32_e32 v23, 0x3eedf032, v12
	v_fmamk_f32 v12, v47, 0x3df6dbef, v48
	v_sub_f32_e32 v18, v29, v18
	v_mul_f32_e32 v29, 0x3df6dbef, v19
	v_add_f32_e32 v24, v32, v24
	v_add_f32_e32 v23, v23, v25
	;; [unrolled: 1-line block ×3, first 2 shown]
	v_mul_f32_e32 v12, 0xbe750f2a, v43
	v_fmamk_f32 v25, v18, 0x3f7e222b, v29
	v_fma_f32 v32, 0x3df6dbef, v47, -v48
	v_fmac_f32_e32 v29, 0xbf7e222b, v18
	v_mul_f32_e32 v46, 0xbf788fa5, v19
	v_fmamk_f32 v48, v47, 0xbf788fa5, v12
	v_add_f32_e32 v22, v25, v22
	v_add_f32_e32 v25, v32, v26
	;; [unrolled: 1-line block ×3, first 2 shown]
	v_fmamk_f32 v26, v18, 0x3e750f2a, v46
	v_mul_f32_e32 v29, 0x3f6f5d39, v43
	v_fma_f32 v12, 0xbf788fa5, v47, -v12
	v_fmac_f32_e32 v46, 0xbe750f2a, v18
	v_add_f32_e32 v28, v48, v28
	v_add_f32_e32 v26, v26, v27
	v_mul_f32_e32 v27, 0xbeb58ec6, v19
	v_fmamk_f32 v32, v47, 0xbeb58ec6, v29
	v_add_f32_e32 v12, v12, v15
	v_add_f32_e32 v15, v46, v21
	v_mul_f32_e32 v21, 0x3eedf032, v43
	v_fmamk_f32 v46, v18, 0xbf6f5d39, v27
	v_add_f32_e32 v32, v32, v35
	v_fma_f32 v29, 0xbeb58ec6, v47, -v29
	v_fmac_f32_e32 v27, 0x3f6f5d39, v18
	v_fmamk_f32 v35, v47, 0x3f62ad3f, v21
	v_fma_f32 v21, 0x3f62ad3f, v47, -v21
	v_add_f32_e32 v42, v42, v54
	v_add_f32_e32 v29, v29, v30
	v_add_f32_e32 v27, v27, v34
	v_add_f32_e32 v30, v35, v36
	v_mul_f32_e32 v34, 0xbf52af12, v43
	v_mul_f32_e32 v36, 0x3f116cb1, v19
	v_add_f32_e32 v21, v21, v33
	v_mul_f32_e32 v43, 0xbf29c268, v43
	v_add_f32_e32 v40, v46, v40
	v_fmamk_f32 v48, v47, 0x3f116cb1, v34
	v_fmamk_f32 v33, v18, 0x3f52af12, v36
	v_fma_f32 v34, 0x3f116cb1, v47, -v34
	v_mul_f32_e32 v46, 0x3f62ad3f, v19
	v_fmac_f32_e32 v36, 0xbf52af12, v18
	v_add_f32_e32 v42, v52, v42
	v_add_f32_e32 v33, v33, v39
	v_fmamk_f32 v39, v47, 0xbf3f9e67, v43
	v_add_f32_e32 v34, v34, v37
	v_sub_f32_e32 v37, v14, v17
	v_fmamk_f32 v35, v18, 0xbeedf032, v46
	v_fmac_f32_e32 v46, 0x3eedf032, v18
	v_mul_f32_e32 v19, 0xbf3f9e67, v19
	v_add_f32_e32 v36, v36, v41
	v_add_f32_e32 v39, v39, v45
	;; [unrolled: 1-line block ×3, first 2 shown]
	v_mul_f32_e32 v45, 0xbf6f5d39, v37
	v_add_f32_e32 v35, v35, v38
	v_add_f32_e32 v38, v46, v42
	;; [unrolled: 1-line block ×3, first 2 shown]
	v_fmamk_f32 v44, v18, 0x3f29c268, v19
	v_add_f32_e32 v14, v14, v17
	v_fmac_f32_e32 v19, 0xbf29c268, v18
	v_fmamk_f32 v18, v41, 0xbeb58ec6, v45
	v_fma_f32 v17, 0xbf3f9e67, v47, -v43
	v_sub_f32_e32 v16, v31, v16
	v_mul_f32_e32 v31, 0xbeb58ec6, v14
	v_add_f32_e32 v19, v19, v23
	v_add_f32_e32 v10, v18, v10
	v_mul_f32_e32 v18, 0x3f29c268, v37
	v_add_f32_e32 v17, v17, v24
	v_fmamk_f32 v23, v16, 0x3f6f5d39, v31
	v_fma_f32 v24, 0xbeb58ec6, v41, -v45
	v_mul_f32_e32 v43, 0xbf3f9e67, v14
	v_fmamk_f32 v45, v41, 0xbf3f9e67, v18
	v_fmac_f32_e32 v31, 0xbf6f5d39, v16
	v_add_f32_e32 v22, v23, v22
	v_add_f32_e32 v23, v24, v25
	v_fmamk_f32 v24, v16, 0xbf29c268, v43
	v_add_f32_e32 v25, v45, v28
	v_mul_f32_e32 v28, 0x3eedf032, v37
	v_fma_f32 v18, 0xbf3f9e67, v41, -v18
	v_add_f32_e32 v20, v31, v20
	v_fmac_f32_e32 v43, 0x3f29c268, v16
	v_add_f32_e32 v24, v24, v26
	v_mul_f32_e32 v26, 0x3f62ad3f, v14
	v_fmamk_f32 v31, v41, 0x3f62ad3f, v28
	v_add_f32_e32 v12, v18, v12
	v_mul_f32_e32 v18, 0xbf7e222b, v37
	v_add_f32_e32 v15, v43, v15
	v_fmamk_f32 v43, v16, 0xbeedf032, v26
	v_add_f32_e32 v31, v31, v32
	v_fma_f32 v28, 0x3f62ad3f, v41, -v28
	v_fmac_f32_e32 v26, 0x3eedf032, v16
	v_fmamk_f32 v32, v41, 0x3df6dbef, v18
	v_fma_f32 v18, 0x3df6dbef, v41, -v18
	v_add_f32_e32 v40, v43, v40
	v_add_f32_e32 v28, v28, v29
	v_add_f32_e32 v26, v26, v27
	v_add_f32_e32 v27, v32, v30
	v_mul_f32_e32 v29, 0x3e750f2a, v37
	v_mul_f32_e32 v32, 0xbf788fa5, v14
	v_add_f32_e32 v18, v18, v21
	v_mul_f32_e32 v37, 0x3f52af12, v37
	v_mul_f32_e32 v43, 0x3df6dbef, v14
	v_fmamk_f32 v45, v41, 0xbf788fa5, v29
	v_fmamk_f32 v21, v16, 0xbe750f2a, v32
	v_fma_f32 v29, 0xbf788fa5, v41, -v29
	v_fmac_f32_e32 v32, 0x3e750f2a, v16
	v_fmamk_f32 v30, v16, 0x3f7e222b, v43
	v_fmac_f32_e32 v43, 0xbf7e222b, v16
	v_add_f32_e32 v21, v21, v33
	v_fmamk_f32 v33, v41, 0x3f116cb1, v37
	v_add_f32_e32 v29, v29, v34
	v_sub_f32_e32 v34, v8, v13
	v_mul_f32_e32 v14, 0x3f116cb1, v14
	v_add_f32_e32 v32, v32, v36
	v_add_f32_e32 v33, v33, v39
	;; [unrolled: 1-line block ×3, first 2 shown]
	v_mul_f32_e32 v39, 0xbf29c268, v34
	v_add_f32_e32 v8, v8, v13
	v_add_f32_e32 v30, v30, v35
	;; [unrolled: 1-line block ×4, first 2 shown]
	v_fmamk_f32 v42, v16, 0xbf52af12, v14
	v_fma_f32 v13, 0x3f116cb1, v41, -v37
	v_fmac_f32_e32 v14, 0x3f52af12, v16
	v_fmamk_f32 v16, v36, 0xbf3f9e67, v39
	v_sub_f32_e32 v7, v7, v9
	v_mul_f32_e32 v9, 0xbf3f9e67, v8
	v_add_f32_e32 v13, v13, v17
	v_add_f32_e32 v14, v14, v19
	;; [unrolled: 1-line block ×3, first 2 shown]
	v_mul_f32_e32 v16, 0x3f7e222b, v34
	v_fmamk_f32 v17, v7, 0x3f29c268, v9
	v_fma_f32 v19, 0xbf3f9e67, v36, -v39
	v_fmac_f32_e32 v9, 0xbf29c268, v7
	v_mul_f32_e32 v37, 0x3df6dbef, v8
	v_fmamk_f32 v39, v36, 0x3df6dbef, v16
	v_fma_f32 v16, 0x3df6dbef, v36, -v16
	v_add_f32_e32 v19, v19, v23
	v_add_f32_e32 v9, v9, v20
	v_fmamk_f32 v20, v7, 0xbf7e222b, v37
	v_mul_f32_e32 v23, 0xbf52af12, v34
	v_add_f32_e32 v17, v17, v22
	v_add_f32_e32 v22, v39, v25
	v_fmac_f32_e32 v37, 0x3f7e222b, v7
	v_add_f32_e32 v20, v20, v24
	v_mul_f32_e32 v24, 0x3f116cb1, v8
	v_fmamk_f32 v25, v36, 0x3f116cb1, v23
	v_add_f32_e32 v12, v16, v12
	v_mul_f32_e32 v16, 0x3e750f2a, v34
	v_add_f32_e32 v15, v37, v15
	v_fmamk_f32 v37, v7, 0x3f52af12, v24
	v_add_f32_e32 v25, v25, v31
	v_fma_f32 v23, 0x3f116cb1, v36, -v23
	v_fmac_f32_e32 v24, 0xbf52af12, v7
	v_fmamk_f32 v31, v36, 0xbf788fa5, v16
	v_mul_f32_e32 v39, 0xbf788fa5, v8
	v_fma_f32 v16, 0xbf788fa5, v36, -v16
	v_add_f32_e32 v23, v23, v28
	v_add_f32_e32 v24, v24, v26
	;; [unrolled: 1-line block ×3, first 2 shown]
	v_mul_f32_e32 v27, 0x3eedf032, v34
	v_fmamk_f32 v28, v7, 0xbe750f2a, v39
	v_mul_f32_e32 v31, 0x3f62ad3f, v8
	v_add_f32_e32 v37, v37, v40
	v_fmac_f32_e32 v39, 0x3e750f2a, v7
	v_fmamk_f32 v40, v36, 0x3f62ad3f, v27
	v_add_f32_e32 v28, v28, v30
	v_add_f32_e32 v30, v16, v18
	v_fmamk_f32 v16, v7, 0xbeedf032, v31
	v_mul_f32_e32 v18, 0xbf6f5d39, v34
	v_fma_f32 v27, 0x3f62ad3f, v36, -v27
	v_fmac_f32_e32 v31, 0x3eedf032, v7
	v_add_f32_e32 v35, v39, v35
	v_add_f32_e32 v34, v16, v21
	v_fmamk_f32 v16, v36, 0xbeb58ec6, v18
	v_add_f32_e32 v27, v27, v29
	v_sub_f32_e32 v29, v5, v6
	v_add_f32_e32 v38, v40, v38
	v_mul_f32_e32 v8, 0xbeb58ec6, v8
	v_add_f32_e32 v31, v31, v32
	v_add_f32_e32 v32, v16, v33
	;; [unrolled: 1-line block ×3, first 2 shown]
	v_mul_f32_e32 v16, 0xbe750f2a, v29
	v_add_f32_e32 v40, v5, v6
	v_add_f32_e32 v50, v50, v54
	v_fmamk_f32 v21, v7, 0x3f6f5d39, v8
	v_fma_f32 v5, 0xbeb58ec6, v36, -v18
	v_fmac_f32_e32 v8, 0xbf6f5d39, v7
	v_sub_f32_e32 v36, v3, v4
	v_fmamk_f32 v3, v39, 0xbf788fa5, v16
	v_mul_f32_e32 v7, 0xbf788fa5, v40
	v_add_f32_e32 v49, v49, v50
	v_add_f32_e32 v41, v5, v13
	v_fma_f32 v6, 0xbf788fa5, v39, -v16
	v_add_f32_e32 v4, v3, v10
	v_fmamk_f32 v3, v36, 0x3e750f2a, v7
	v_mul_f32_e32 v10, 0x3f62ad3f, v40
	v_add_f32_e32 v44, v44, v49
	v_fmac_f32_e32 v7, 0xbe750f2a, v36
	v_mul_f32_e32 v16, 0xbf29c268, v29
	v_add_f32_e32 v5, v3, v17
	v_fmamk_f32 v3, v36, 0xbeedf032, v10
	v_add_f32_e32 v42, v42, v44
	v_mul_f32_e32 v13, 0x3eedf032, v29
	v_add_f32_e32 v7, v7, v9
	v_fmac_f32_e32 v10, 0x3eedf032, v36
	v_add_f32_e32 v9, v3, v20
	v_fmamk_f32 v3, v39, 0xbf3f9e67, v16
	v_add_f32_e32 v33, v21, v42
	v_add_f32_e32 v42, v8, v14
	v_fmamk_f32 v8, v39, 0x3f62ad3f, v13
	v_fma_f32 v13, 0x3f62ad3f, v39, -v13
	v_mul_f32_e32 v17, 0xbf3f9e67, v40
	v_add_f32_e32 v14, v3, v25
	v_fma_f32 v3, 0xbf3f9e67, v39, -v16
	v_add_f32_e32 v6, v6, v19
	v_add_f32_e32 v12, v13, v12
	;; [unrolled: 1-line block ×3, first 2 shown]
	v_fmamk_f32 v10, v36, 0x3f29c268, v17
	v_fmac_f32_e32 v17, 0xbf29c268, v36
	v_add_f32_e32 v16, v3, v23
	v_mul_f32_e32 v3, 0xbf6f5d39, v29
	v_mul_f32_e32 v19, 0x3f52af12, v29
	v_add_f32_e32 v8, v8, v22
	v_add_f32_e32 v17, v17, v24
	;; [unrolled: 1-line block ×3, first 2 shown]
	v_fmamk_f32 v22, v39, 0xbeb58ec6, v3
	v_fma_f32 v24, 0xbeb58ec6, v39, -v3
	v_mul_hi_u32 v3, 0x15555556, v0
	v_fma_f32 v20, 0x3f116cb1, v39, -v19
	v_fmamk_f32 v10, v39, 0x3f116cb1, v19
	v_mul_f32_e32 v21, 0x3f116cb1, v40
	v_mul_f32_e32 v25, 0xbeb58ec6, v40
	ds_write2_b64 v11, v[1:2], v[4:5] offset1:13
	v_add_f32_e32 v20, v20, v30
	v_add_f32_e32 v18, v10, v26
	v_mul_u32_u24_e32 v30, 12, v3
	v_fmamk_f32 v10, v36, 0xbf52af12, v21
	v_mul_f32_e32 v26, 0x3f7e222b, v29
	v_mul_f32_e32 v29, 0x3df6dbef, v40
	v_add_f32_e32 v24, v24, v27
	v_sub_nc_u32_e32 v0, v0, v30
	v_add_f32_e32 v19, v10, v28
	v_fmamk_f32 v10, v36, 0x3f6f5d39, v25
	v_fmamk_f32 v27, v36, 0xbf7e222b, v29
	v_fma_f32 v28, 0x3df6dbef, v39, -v26
	v_add_nc_u32_e32 v1, s19, v0
	v_fmac_f32_e32 v29, 0x3f7e222b, v36
	v_add_f32_e32 v23, v10, v34
	v_fmamk_f32 v10, v39, 0x3df6dbef, v26
	v_fmac_f32_e32 v21, 0x3f52af12, v36
	v_fmac_f32_e32 v25, 0xbf6f5d39, v36
	v_cmp_gt_u32_e32 vcc_lo, s33, v1
	v_add_f32_e32 v22, v22, v38
	v_add_f32_e32 v26, v10, v32
	;; [unrolled: 1-line block ×7, first 2 shown]
	s_or_b32 s0, s12, vcc_lo
	ds_write2_b64 v11, v[8:9], v[14:15] offset0:26 offset1:39
	ds_write2_b64 v11, v[18:19], v[22:23] offset0:52 offset1:65
	;; [unrolled: 1-line block ×5, first 2 shown]
	ds_write_b64 v11, v[6:7] offset:1248
	s_waitcnt lgkmcnt(0)
	s_barrier
	buffer_gl0_inv
	s_and_saveexec_b32 s1, s0
	s_cbranch_execz .LBB0_16
; %bb.15:
	v_mad_u64_u32 v[1:2], null, s16, v0, 0
	v_mul_i32_i24_e32 v6, 0x548, v0
	s_mul_i32 s1, s7, s23
	s_mul_hi_u32 s7, s6, s23
	v_mul_lo_u32 v8, v3, s18
	s_mul_i32 s0, s6, s23
	s_add_i32 s1, s7, s1
	v_mad_u64_u32 v[4:5], null, s17, v0, v[2:3]
	v_lshlrev_b32_e32 v0, 3, v3
	v_mov_b32_e32 v9, 0
	s_lshl_b64 s[0:1], s[0:1], 3
	s_mul_i32 s6, s18, 13
	s_add_u32 s2, s2, s0
	v_add3_u32 v18, 0, v6, v0
	v_mov_b32_e32 v2, v4
	s_addc_u32 s3, s3, s1
	s_lshl_b64 s[0:1], s[4:5], 3
	v_lshlrev_b64 v[4:5], 3, v[8:9]
	v_add_nc_u32_e32 v8, s6, v8
	v_lshlrev_b64 v[6:7], 3, v[1:2]
	ds_read2_b64 v[0:3], v18 offset1:13
	s_add_u32 s0, s2, s0
	s_addc_u32 s1, s3, s1
	v_lshlrev_b64 v[10:11], 3, v[8:9]
	v_add_nc_u32_e32 v8, s6, v8
	v_add_co_u32 v20, vcc_lo, s0, v6
	v_add_co_ci_u32_e32 v21, vcc_lo, s1, v7, vcc_lo
	v_add_co_u32 v4, vcc_lo, v20, v4
	v_add_co_ci_u32_e32 v5, vcc_lo, v21, v5, vcc_lo
	;; [unrolled: 2-line block ×3, first 2 shown]
	v_lshlrev_b64 v[10:11], 3, v[8:9]
	v_add_nc_u32_e32 v8, s6, v8
	s_waitcnt lgkmcnt(0)
	global_store_dwordx2 v[4:5], v[0:1], off
	global_store_dwordx2 v[6:7], v[2:3], off
	ds_read2_b64 v[0:3], v18 offset0:26 offset1:39
	ds_read2_b64 v[4:7], v18 offset0:52 offset1:65
	v_lshlrev_b64 v[12:13], 3, v[8:9]
	v_add_nc_u32_e32 v8, s6, v8
	v_add_co_u32 v10, vcc_lo, v20, v10
	v_add_co_ci_u32_e32 v11, vcc_lo, v21, v11, vcc_lo
	v_lshlrev_b64 v[14:15], 3, v[8:9]
	v_add_co_u32 v12, vcc_lo, v20, v12
	v_add_co_ci_u32_e32 v13, vcc_lo, v21, v13, vcc_lo
	v_add_nc_u32_e32 v8, s6, v8
	v_add_co_u32 v14, vcc_lo, v20, v14
	v_add_co_ci_u32_e32 v15, vcc_lo, v21, v15, vcc_lo
	v_lshlrev_b64 v[16:17], 3, v[8:9]
	v_add_nc_u32_e32 v8, s6, v8
	s_waitcnt lgkmcnt(1)
	global_store_dwordx2 v[10:11], v[0:1], off
	global_store_dwordx2 v[12:13], v[2:3], off
	s_waitcnt lgkmcnt(0)
	global_store_dwordx2 v[14:15], v[4:5], off
	ds_read2_b64 v[0:3], v18 offset0:78 offset1:91
	v_lshlrev_b64 v[4:5], 3, v[8:9]
	v_add_nc_u32_e32 v8, s6, v8
	v_add_co_u32 v10, vcc_lo, v20, v16
	v_add_co_ci_u32_e32 v11, vcc_lo, v21, v17, vcc_lo
	v_lshlrev_b64 v[12:13], 3, v[8:9]
	v_add_nc_u32_e32 v8, s6, v8
	v_add_co_u32 v4, vcc_lo, v20, v4
	v_add_co_ci_u32_e32 v5, vcc_lo, v21, v5, vcc_lo
	v_add_co_u32 v12, vcc_lo, v20, v12
	v_lshlrev_b64 v[14:15], 3, v[8:9]
	v_add_nc_u32_e32 v8, s6, v8
	v_add_co_ci_u32_e32 v13, vcc_lo, v21, v13, vcc_lo
	global_store_dwordx2 v[10:11], v[6:7], off
	s_waitcnt lgkmcnt(0)
	global_store_dwordx2 v[4:5], v[0:1], off
	global_store_dwordx2 v[12:13], v[2:3], off
	v_lshlrev_b64 v[10:11], 3, v[8:9]
	v_add_nc_u32_e32 v8, s6, v8
	v_add_co_u32 v12, vcc_lo, v20, v14
	ds_read2_b64 v[0:3], v18 offset0:104 offset1:117
	v_add_co_ci_u32_e32 v13, vcc_lo, v21, v15, vcc_lo
	v_lshlrev_b64 v[14:15], 3, v[8:9]
	v_add_nc_u32_e32 v8, s6, v8
	ds_read2_b64 v[4:7], v18 offset0:130 offset1:143
	ds_read_b64 v[16:17], v18 offset:1248
	v_add_co_u32 v10, vcc_lo, v20, v10
	v_lshlrev_b64 v[18:19], 3, v[8:9]
	v_add_nc_u32_e32 v8, s6, v8
	v_add_co_ci_u32_e32 v11, vcc_lo, v21, v11, vcc_lo
	v_add_co_u32 v14, vcc_lo, v20, v14
	v_lshlrev_b64 v[8:9], 3, v[8:9]
	v_add_co_ci_u32_e32 v15, vcc_lo, v21, v15, vcc_lo
	v_add_co_u32 v18, vcc_lo, v20, v18
	v_add_co_ci_u32_e32 v19, vcc_lo, v21, v19, vcc_lo
	v_add_co_u32 v8, vcc_lo, v20, v8
	v_add_co_ci_u32_e32 v9, vcc_lo, v21, v9, vcc_lo
	s_waitcnt lgkmcnt(2)
	global_store_dwordx2 v[12:13], v[0:1], off
	global_store_dwordx2 v[10:11], v[2:3], off
	s_waitcnt lgkmcnt(1)
	global_store_dwordx2 v[14:15], v[4:5], off
	global_store_dwordx2 v[18:19], v[6:7], off
	s_waitcnt lgkmcnt(0)
	global_store_dwordx2 v[8:9], v[16:17], off
.LBB0_16:
	s_endpgm
	.section	.rodata,"a",@progbits
	.p2align	6, 0x0
	.amdhsa_kernel fft_rtc_back_len169_factors_13_13_wgs_156_tpt_13_sp_op_CI_CI_sbrc_unaligned
		.amdhsa_group_segment_fixed_size 0
		.amdhsa_private_segment_fixed_size 0
		.amdhsa_kernarg_size 104
		.amdhsa_user_sgpr_count 6
		.amdhsa_user_sgpr_private_segment_buffer 1
		.amdhsa_user_sgpr_dispatch_ptr 0
		.amdhsa_user_sgpr_queue_ptr 0
		.amdhsa_user_sgpr_kernarg_segment_ptr 1
		.amdhsa_user_sgpr_dispatch_id 0
		.amdhsa_user_sgpr_flat_scratch_init 0
		.amdhsa_user_sgpr_private_segment_size 0
		.amdhsa_wavefront_size32 1
		.amdhsa_uses_dynamic_stack 0
		.amdhsa_system_sgpr_private_segment_wavefront_offset 0
		.amdhsa_system_sgpr_workgroup_id_x 1
		.amdhsa_system_sgpr_workgroup_id_y 0
		.amdhsa_system_sgpr_workgroup_id_z 0
		.amdhsa_system_sgpr_workgroup_info 0
		.amdhsa_system_vgpr_workitem_id 0
		.amdhsa_next_free_vgpr 61
		.amdhsa_next_free_sgpr 46
		.amdhsa_reserve_vcc 1
		.amdhsa_reserve_flat_scratch 0
		.amdhsa_float_round_mode_32 0
		.amdhsa_float_round_mode_16_64 0
		.amdhsa_float_denorm_mode_32 3
		.amdhsa_float_denorm_mode_16_64 3
		.amdhsa_dx10_clamp 1
		.amdhsa_ieee_mode 1
		.amdhsa_fp16_overflow 0
		.amdhsa_workgroup_processor_mode 1
		.amdhsa_memory_ordered 1
		.amdhsa_forward_progress 0
		.amdhsa_shared_vgpr_count 0
		.amdhsa_exception_fp_ieee_invalid_op 0
		.amdhsa_exception_fp_denorm_src 0
		.amdhsa_exception_fp_ieee_div_zero 0
		.amdhsa_exception_fp_ieee_overflow 0
		.amdhsa_exception_fp_ieee_underflow 0
		.amdhsa_exception_fp_ieee_inexact 0
		.amdhsa_exception_int_div_zero 0
	.end_amdhsa_kernel
	.text
.Lfunc_end0:
	.size	fft_rtc_back_len169_factors_13_13_wgs_156_tpt_13_sp_op_CI_CI_sbrc_unaligned, .Lfunc_end0-fft_rtc_back_len169_factors_13_13_wgs_156_tpt_13_sp_op_CI_CI_sbrc_unaligned
                                        ; -- End function
	.section	.AMDGPU.csdata,"",@progbits
; Kernel info:
; codeLenInByte = 9816
; NumSgprs: 48
; NumVgprs: 61
; ScratchSize: 0
; MemoryBound: 0
; FloatMode: 240
; IeeeMode: 1
; LDSByteSize: 0 bytes/workgroup (compile time only)
; SGPRBlocks: 5
; VGPRBlocks: 7
; NumSGPRsForWavesPerEU: 48
; NumVGPRsForWavesPerEU: 61
; Occupancy: 15
; WaveLimiterHint : 1
; COMPUTE_PGM_RSRC2:SCRATCH_EN: 0
; COMPUTE_PGM_RSRC2:USER_SGPR: 6
; COMPUTE_PGM_RSRC2:TRAP_HANDLER: 0
; COMPUTE_PGM_RSRC2:TGID_X_EN: 1
; COMPUTE_PGM_RSRC2:TGID_Y_EN: 0
; COMPUTE_PGM_RSRC2:TGID_Z_EN: 0
; COMPUTE_PGM_RSRC2:TIDIG_COMP_CNT: 0
	.text
	.p2alignl 6, 3214868480
	.fill 48, 4, 3214868480
	.type	__hip_cuid_c7baa7517776916f,@object ; @__hip_cuid_c7baa7517776916f
	.section	.bss,"aw",@nobits
	.globl	__hip_cuid_c7baa7517776916f
__hip_cuid_c7baa7517776916f:
	.byte	0                               ; 0x0
	.size	__hip_cuid_c7baa7517776916f, 1

	.ident	"AMD clang version 19.0.0git (https://github.com/RadeonOpenCompute/llvm-project roc-6.4.0 25133 c7fe45cf4b819c5991fe208aaa96edf142730f1d)"
	.section	".note.GNU-stack","",@progbits
	.addrsig
	.addrsig_sym __hip_cuid_c7baa7517776916f
	.amdgpu_metadata
---
amdhsa.kernels:
  - .args:
      - .actual_access:  read_only
        .address_space:  global
        .offset:         0
        .size:           8
        .value_kind:     global_buffer
      - .offset:         8
        .size:           8
        .value_kind:     by_value
      - .actual_access:  read_only
        .address_space:  global
        .offset:         16
        .size:           8
        .value_kind:     global_buffer
      - .actual_access:  read_only
        .address_space:  global
        .offset:         24
        .size:           8
        .value_kind:     global_buffer
      - .actual_access:  read_only
        .address_space:  global
        .offset:         32
        .size:           8
        .value_kind:     global_buffer
      - .offset:         40
        .size:           8
        .value_kind:     by_value
      - .actual_access:  read_only
        .address_space:  global
        .offset:         48
        .size:           8
        .value_kind:     global_buffer
      - .actual_access:  read_only
        .address_space:  global
        .offset:         56
        .size:           8
        .value_kind:     global_buffer
      - .offset:         64
        .size:           4
        .value_kind:     by_value
      - .actual_access:  read_only
        .address_space:  global
        .offset:         72
        .size:           8
        .value_kind:     global_buffer
      - .actual_access:  read_only
        .address_space:  global
        .offset:         80
        .size:           8
        .value_kind:     global_buffer
      - .actual_access:  read_only
        .address_space:  global
        .offset:         88
        .size:           8
        .value_kind:     global_buffer
      - .actual_access:  write_only
        .address_space:  global
        .offset:         96
        .size:           8
        .value_kind:     global_buffer
    .group_segment_fixed_size: 0
    .kernarg_segment_align: 8
    .kernarg_segment_size: 104
    .language:       OpenCL C
    .language_version:
      - 2
      - 0
    .max_flat_workgroup_size: 156
    .name:           fft_rtc_back_len169_factors_13_13_wgs_156_tpt_13_sp_op_CI_CI_sbrc_unaligned
    .private_segment_fixed_size: 0
    .sgpr_count:     48
    .sgpr_spill_count: 0
    .symbol:         fft_rtc_back_len169_factors_13_13_wgs_156_tpt_13_sp_op_CI_CI_sbrc_unaligned.kd
    .uniform_work_group_size: 1
    .uses_dynamic_stack: false
    .vgpr_count:     61
    .vgpr_spill_count: 0
    .wavefront_size: 32
    .workgroup_processor_mode: 1
amdhsa.target:   amdgcn-amd-amdhsa--gfx1030
amdhsa.version:
  - 1
  - 2
...

	.end_amdgpu_metadata
